;; amdgpu-corpus repo=LLNL/RAJAPerf kind=compiled arch=gfx1100 opt=O3
	.text
	.amdgcn_target "amdgcn-amd-amdhsa--gfx1100"
	.amdhsa_code_object_version 6
	.section	.text._ZN8rajaperf9polybench12poly_gesummvILm256EEEvPdS2_S2_S2_ddl,"axG",@progbits,_ZN8rajaperf9polybench12poly_gesummvILm256EEEvPdS2_S2_S2_ddl,comdat
	.protected	_ZN8rajaperf9polybench12poly_gesummvILm256EEEvPdS2_S2_S2_ddl ; -- Begin function _ZN8rajaperf9polybench12poly_gesummvILm256EEEvPdS2_S2_S2_ddl
	.globl	_ZN8rajaperf9polybench12poly_gesummvILm256EEEvPdS2_S2_S2_ddl
	.p2align	8
	.type	_ZN8rajaperf9polybench12poly_gesummvILm256EEEvPdS2_S2_S2_ddl,@function
_ZN8rajaperf9polybench12poly_gesummvILm256EEEvPdS2_S2_S2_ddl: ; @_ZN8rajaperf9polybench12poly_gesummvILm256EEEvPdS2_S2_S2_ddl
; %bb.0:
	s_mov_b32 s2, s15
	s_load_b128 s[12:15], s[0:1], 0x30
	s_mov_b32 s3, 0
	s_delay_alu instid0(SALU_CYCLE_1) | instskip(NEXT) | instid1(SALU_CYCLE_1)
	s_lshl_b64 s[2:3], s[2:3], 8
	v_or_b32_e32 v0, s2, v0
	v_mov_b32_e32 v1, s3
	s_mov_b32 s2, exec_lo
	s_waitcnt lgkmcnt(0)
	s_delay_alu instid0(VALU_DEP_1)
	v_cmpx_gt_i64_e64 s[12:13], v[0:1]
	s_cbranch_execz .LBB0_4
; %bb.1:
	s_load_b256 s[4:11], s[0:1], 0x0
	v_mul_lo_u32 v4, s13, v0
	v_mul_lo_u32 v5, s12, v1
	v_mad_u64_u32 v[2:3], null, s12, v0, 0
	s_load_b128 s[0:3], s[0:1], 0x20
	s_delay_alu instid0(VALU_DEP_1) | instskip(NEXT) | instid1(VALU_DEP_1)
	v_add3_u32 v3, v3, v5, v4
	v_lshlrev_b64 v[4:5], 3, v[2:3]
	v_mov_b32_e32 v2, 0
	v_mov_b32_e32 v3, 0
	s_waitcnt lgkmcnt(0)
	s_delay_alu instid0(VALU_DEP_3) | instskip(NEXT) | instid1(VALU_DEP_4)
	v_add_co_u32 v6, vcc_lo, s8, v4
	v_add_co_ci_u32_e32 v7, vcc_lo, s9, v5, vcc_lo
	v_add_co_u32 v8, vcc_lo, s10, v4
	v_add_co_ci_u32_e32 v9, vcc_lo, s11, v5, vcc_lo
	v_dual_mov_b32 v5, v3 :: v_dual_mov_b32 v4, v2
	.p2align	6
.LBB0_2:                                ; =>This Inner Loop Header: Depth=1
	global_load_b64 v[10:11], v[6:7], off
	global_load_b64 v[12:13], v[8:9], off
	s_load_b64 s[8:9], s[4:5], 0x0
	v_add_co_u32 v6, vcc_lo, v6, 8
	v_add_co_ci_u32_e32 v7, vcc_lo, 0, v7, vcc_lo
	v_add_co_u32 v8, vcc_lo, v8, 8
	s_add_u32 s12, s12, -1
	v_add_co_ci_u32_e32 v9, vcc_lo, 0, v9, vcc_lo
	s_addc_u32 s13, s13, -1
	s_add_u32 s4, s4, 8
	s_addc_u32 s5, s5, 0
	s_cmp_eq_u64 s[12:13], 0
	s_waitcnt vmcnt(1) lgkmcnt(0)
	v_fma_f64 v[4:5], v[10:11], s[8:9], v[4:5]
	s_waitcnt vmcnt(0)
	v_fma_f64 v[2:3], s[8:9], v[12:13], v[2:3]
	s_cbranch_scc0 .LBB0_2
; %bb.3:
	s_delay_alu instid0(VALU_DEP_1) | instskip(SKIP_1) | instid1(VALU_DEP_1)
	v_mul_f64 v[2:3], v[2:3], s[2:3]
	v_lshlrev_b64 v[0:1], 3, v[0:1]
	v_add_co_u32 v0, vcc_lo, s6, v0
	s_delay_alu instid0(VALU_DEP_2) | instskip(NEXT) | instid1(VALU_DEP_4)
	v_add_co_ci_u32_e32 v1, vcc_lo, s7, v1, vcc_lo
	v_fma_f64 v[2:3], v[4:5], s[0:1], v[2:3]
	global_store_b64 v[0:1], v[2:3], off
.LBB0_4:
	s_nop 0
	s_sendmsg sendmsg(MSG_DEALLOC_VGPRS)
	s_endpgm
	.section	.rodata,"a",@progbits
	.p2align	6, 0x0
	.amdhsa_kernel _ZN8rajaperf9polybench12poly_gesummvILm256EEEvPdS2_S2_S2_ddl
		.amdhsa_group_segment_fixed_size 0
		.amdhsa_private_segment_fixed_size 0
		.amdhsa_kernarg_size 56
		.amdhsa_user_sgpr_count 15
		.amdhsa_user_sgpr_dispatch_ptr 0
		.amdhsa_user_sgpr_queue_ptr 0
		.amdhsa_user_sgpr_kernarg_segment_ptr 1
		.amdhsa_user_sgpr_dispatch_id 0
		.amdhsa_user_sgpr_private_segment_size 0
		.amdhsa_wavefront_size32 1
		.amdhsa_uses_dynamic_stack 0
		.amdhsa_enable_private_segment 0
		.amdhsa_system_sgpr_workgroup_id_x 1
		.amdhsa_system_sgpr_workgroup_id_y 0
		.amdhsa_system_sgpr_workgroup_id_z 0
		.amdhsa_system_sgpr_workgroup_info 0
		.amdhsa_system_vgpr_workitem_id 0
		.amdhsa_next_free_vgpr 14
		.amdhsa_next_free_sgpr 16
		.amdhsa_reserve_vcc 1
		.amdhsa_float_round_mode_32 0
		.amdhsa_float_round_mode_16_64 0
		.amdhsa_float_denorm_mode_32 3
		.amdhsa_float_denorm_mode_16_64 3
		.amdhsa_dx10_clamp 1
		.amdhsa_ieee_mode 1
		.amdhsa_fp16_overflow 0
		.amdhsa_workgroup_processor_mode 1
		.amdhsa_memory_ordered 1
		.amdhsa_forward_progress 0
		.amdhsa_shared_vgpr_count 0
		.amdhsa_exception_fp_ieee_invalid_op 0
		.amdhsa_exception_fp_denorm_src 0
		.amdhsa_exception_fp_ieee_div_zero 0
		.amdhsa_exception_fp_ieee_overflow 0
		.amdhsa_exception_fp_ieee_underflow 0
		.amdhsa_exception_fp_ieee_inexact 0
		.amdhsa_exception_int_div_zero 0
	.end_amdhsa_kernel
	.section	.text._ZN8rajaperf9polybench12poly_gesummvILm256EEEvPdS2_S2_S2_ddl,"axG",@progbits,_ZN8rajaperf9polybench12poly_gesummvILm256EEEvPdS2_S2_S2_ddl,comdat
.Lfunc_end0:
	.size	_ZN8rajaperf9polybench12poly_gesummvILm256EEEvPdS2_S2_S2_ddl, .Lfunc_end0-_ZN8rajaperf9polybench12poly_gesummvILm256EEEvPdS2_S2_S2_ddl
                                        ; -- End function
	.section	.AMDGPU.csdata,"",@progbits
; Kernel info:
; codeLenInByte = 324
; NumSgprs: 18
; NumVgprs: 14
; ScratchSize: 0
; MemoryBound: 0
; FloatMode: 240
; IeeeMode: 1
; LDSByteSize: 0 bytes/workgroup (compile time only)
; SGPRBlocks: 2
; VGPRBlocks: 1
; NumSGPRsForWavesPerEU: 18
; NumVGPRsForWavesPerEU: 14
; Occupancy: 16
; WaveLimiterHint : 0
; COMPUTE_PGM_RSRC2:SCRATCH_EN: 0
; COMPUTE_PGM_RSRC2:USER_SGPR: 15
; COMPUTE_PGM_RSRC2:TRAP_HANDLER: 0
; COMPUTE_PGM_RSRC2:TGID_X_EN: 1
; COMPUTE_PGM_RSRC2:TGID_Y_EN: 0
; COMPUTE_PGM_RSRC2:TGID_Z_EN: 0
; COMPUTE_PGM_RSRC2:TIDIG_COMP_CNT: 0
	.section	.text._ZN4RAJA8internal22HipKernelLauncherFixedILi256ENS0_8LoopDataIN4camp5tupleIJNS_4SpanINS_9Iterators16numeric_iteratorIllPlEElEESA_EEENS4_IJddEEENS3_9resources2v13HipEJZN8rajaperf9polybench17POLYBENCH_GESUMMV17runHipVariantImplILm256EEEvNSG_9VariantIDEEUlRdSL_E_ZNSJ_ILm256EEEvSK_EUlllSL_SL_E_ZNSJ_ILm256EEEvSK_EUllSL_SL_E_EEENS0_24HipStatementListExecutorISP_NS3_4listIJNS_9statement3ForILl0ENS_6policy3hip11hip_indexerINS_17iteration_mapping6DirectELNS_23kernel_sync_requirementE0EJNS_3hip11IndexGlobalILNS_9named_dimE0ELi256ELi0EEEEEEJNSS_6LambdaILl0EJNSR_IJNS0_9LambdaArgINS0_18lambda_arg_param_tELl0EEENS16_IS17_Ll1EEEEEEEEENST_ILl1ENSU_10sequential8seq_execEJNS15_ILl1EJNSR_IJNS16_INS0_16lambda_arg_seg_tELl0EEENS16_IS1E_Ll1EEEEEES1A_EEEEEENS15_ILl2EJNSR_IJS1F_EEES1A_EEEEEEEEENS0_9LoopTypesINSR_IJvvEEES1P_EEEEEEvT0_,"axG",@progbits,_ZN4RAJA8internal22HipKernelLauncherFixedILi256ENS0_8LoopDataIN4camp5tupleIJNS_4SpanINS_9Iterators16numeric_iteratorIllPlEElEESA_EEENS4_IJddEEENS3_9resources2v13HipEJZN8rajaperf9polybench17POLYBENCH_GESUMMV17runHipVariantImplILm256EEEvNSG_9VariantIDEEUlRdSL_E_ZNSJ_ILm256EEEvSK_EUlllSL_SL_E_ZNSJ_ILm256EEEvSK_EUllSL_SL_E_EEENS0_24HipStatementListExecutorISP_NS3_4listIJNS_9statement3ForILl0ENS_6policy3hip11hip_indexerINS_17iteration_mapping6DirectELNS_23kernel_sync_requirementE0EJNS_3hip11IndexGlobalILNS_9named_dimE0ELi256ELi0EEEEEEJNSS_6LambdaILl0EJNSR_IJNS0_9LambdaArgINS0_18lambda_arg_param_tELl0EEENS16_IS17_Ll1EEEEEEEEENST_ILl1ENSU_10sequential8seq_execEJNS15_ILl1EJNSR_IJNS16_INS0_16lambda_arg_seg_tELl0EEENS16_IS1E_Ll1EEEEEES1A_EEEEEENS15_ILl2EJNSR_IJS1F_EEES1A_EEEEEEEEENS0_9LoopTypesINSR_IJvvEEES1P_EEEEEEvT0_,comdat
	.protected	_ZN4RAJA8internal22HipKernelLauncherFixedILi256ENS0_8LoopDataIN4camp5tupleIJNS_4SpanINS_9Iterators16numeric_iteratorIllPlEElEESA_EEENS4_IJddEEENS3_9resources2v13HipEJZN8rajaperf9polybench17POLYBENCH_GESUMMV17runHipVariantImplILm256EEEvNSG_9VariantIDEEUlRdSL_E_ZNSJ_ILm256EEEvSK_EUlllSL_SL_E_ZNSJ_ILm256EEEvSK_EUllSL_SL_E_EEENS0_24HipStatementListExecutorISP_NS3_4listIJNS_9statement3ForILl0ENS_6policy3hip11hip_indexerINS_17iteration_mapping6DirectELNS_23kernel_sync_requirementE0EJNS_3hip11IndexGlobalILNS_9named_dimE0ELi256ELi0EEEEEEJNSS_6LambdaILl0EJNSR_IJNS0_9LambdaArgINS0_18lambda_arg_param_tELl0EEENS16_IS17_Ll1EEEEEEEEENST_ILl1ENSU_10sequential8seq_execEJNS15_ILl1EJNSR_IJNS16_INS0_16lambda_arg_seg_tELl0EEENS16_IS1E_Ll1EEEEEES1A_EEEEEENS15_ILl2EJNSR_IJS1F_EEES1A_EEEEEEEEENS0_9LoopTypesINSR_IJvvEEES1P_EEEEEEvT0_ ; -- Begin function _ZN4RAJA8internal22HipKernelLauncherFixedILi256ENS0_8LoopDataIN4camp5tupleIJNS_4SpanINS_9Iterators16numeric_iteratorIllPlEElEESA_EEENS4_IJddEEENS3_9resources2v13HipEJZN8rajaperf9polybench17POLYBENCH_GESUMMV17runHipVariantImplILm256EEEvNSG_9VariantIDEEUlRdSL_E_ZNSJ_ILm256EEEvSK_EUlllSL_SL_E_ZNSJ_ILm256EEEvSK_EUllSL_SL_E_EEENS0_24HipStatementListExecutorISP_NS3_4listIJNS_9statement3ForILl0ENS_6policy3hip11hip_indexerINS_17iteration_mapping6DirectELNS_23kernel_sync_requirementE0EJNS_3hip11IndexGlobalILNS_9named_dimE0ELi256ELi0EEEEEEJNSS_6LambdaILl0EJNSR_IJNS0_9LambdaArgINS0_18lambda_arg_param_tELl0EEENS16_IS17_Ll1EEEEEEEEENST_ILl1ENSU_10sequential8seq_execEJNS15_ILl1EJNSR_IJNS16_INS0_16lambda_arg_seg_tELl0EEENS16_IS1E_Ll1EEEEEES1A_EEEEEENS15_ILl2EJNSR_IJS1F_EEES1A_EEEEEEEEENS0_9LoopTypesINSR_IJvvEEES1P_EEEEEEvT0_
	.globl	_ZN4RAJA8internal22HipKernelLauncherFixedILi256ENS0_8LoopDataIN4camp5tupleIJNS_4SpanINS_9Iterators16numeric_iteratorIllPlEElEESA_EEENS4_IJddEEENS3_9resources2v13HipEJZN8rajaperf9polybench17POLYBENCH_GESUMMV17runHipVariantImplILm256EEEvNSG_9VariantIDEEUlRdSL_E_ZNSJ_ILm256EEEvSK_EUlllSL_SL_E_ZNSJ_ILm256EEEvSK_EUllSL_SL_E_EEENS0_24HipStatementListExecutorISP_NS3_4listIJNS_9statement3ForILl0ENS_6policy3hip11hip_indexerINS_17iteration_mapping6DirectELNS_23kernel_sync_requirementE0EJNS_3hip11IndexGlobalILNS_9named_dimE0ELi256ELi0EEEEEEJNSS_6LambdaILl0EJNSR_IJNS0_9LambdaArgINS0_18lambda_arg_param_tELl0EEENS16_IS17_Ll1EEEEEEEEENST_ILl1ENSU_10sequential8seq_execEJNS15_ILl1EJNSR_IJNS16_INS0_16lambda_arg_seg_tELl0EEENS16_IS1E_Ll1EEEEEES1A_EEEEEENS15_ILl2EJNSR_IJS1F_EEES1A_EEEEEEEEENS0_9LoopTypesINSR_IJvvEEES1P_EEEEEEvT0_
	.p2align	8
	.type	_ZN4RAJA8internal22HipKernelLauncherFixedILi256ENS0_8LoopDataIN4camp5tupleIJNS_4SpanINS_9Iterators16numeric_iteratorIllPlEElEESA_EEENS4_IJddEEENS3_9resources2v13HipEJZN8rajaperf9polybench17POLYBENCH_GESUMMV17runHipVariantImplILm256EEEvNSG_9VariantIDEEUlRdSL_E_ZNSJ_ILm256EEEvSK_EUlllSL_SL_E_ZNSJ_ILm256EEEvSK_EUllSL_SL_E_EEENS0_24HipStatementListExecutorISP_NS3_4listIJNS_9statement3ForILl0ENS_6policy3hip11hip_indexerINS_17iteration_mapping6DirectELNS_23kernel_sync_requirementE0EJNS_3hip11IndexGlobalILNS_9named_dimE0ELi256ELi0EEEEEEJNSS_6LambdaILl0EJNSR_IJNS0_9LambdaArgINS0_18lambda_arg_param_tELl0EEENS16_IS17_Ll1EEEEEEEEENST_ILl1ENSU_10sequential8seq_execEJNS15_ILl1EJNSR_IJNS16_INS0_16lambda_arg_seg_tELl0EEENS16_IS1E_Ll1EEEEEES1A_EEEEEENS15_ILl2EJNSR_IJS1F_EEES1A_EEEEEEEEENS0_9LoopTypesINSR_IJvvEEES1P_EEEEEEvT0_,@function
_ZN4RAJA8internal22HipKernelLauncherFixedILi256ENS0_8LoopDataIN4camp5tupleIJNS_4SpanINS_9Iterators16numeric_iteratorIllPlEElEESA_EEENS4_IJddEEENS3_9resources2v13HipEJZN8rajaperf9polybench17POLYBENCH_GESUMMV17runHipVariantImplILm256EEEvNSG_9VariantIDEEUlRdSL_E_ZNSJ_ILm256EEEvSK_EUlllSL_SL_E_ZNSJ_ILm256EEEvSK_EUllSL_SL_E_EEENS0_24HipStatementListExecutorISP_NS3_4listIJNS_9statement3ForILl0ENS_6policy3hip11hip_indexerINS_17iteration_mapping6DirectELNS_23kernel_sync_requirementE0EJNS_3hip11IndexGlobalILNS_9named_dimE0ELi256ELi0EEEEEEJNSS_6LambdaILl0EJNSR_IJNS0_9LambdaArgINS0_18lambda_arg_param_tELl0EEENS16_IS17_Ll1EEEEEEEEENST_ILl1ENSU_10sequential8seq_execEJNS15_ILl1EJNSR_IJNS16_INS0_16lambda_arg_seg_tELl0EEENS16_IS1E_Ll1EEEEEES1A_EEEEEENS15_ILl2EJNSR_IJS1F_EEES1A_EEEEEEEEENS0_9LoopTypesINSR_IJvvEEES1P_EEEEEEvT0_: ; @_ZN4RAJA8internal22HipKernelLauncherFixedILi256ENS0_8LoopDataIN4camp5tupleIJNS_4SpanINS_9Iterators16numeric_iteratorIllPlEElEESA_EEENS4_IJddEEENS3_9resources2v13HipEJZN8rajaperf9polybench17POLYBENCH_GESUMMV17runHipVariantImplILm256EEEvNSG_9VariantIDEEUlRdSL_E_ZNSJ_ILm256EEEvSK_EUlllSL_SL_E_ZNSJ_ILm256EEEvSK_EUllSL_SL_E_EEENS0_24HipStatementListExecutorISP_NS3_4listIJNS_9statement3ForILl0ENS_6policy3hip11hip_indexerINS_17iteration_mapping6DirectELNS_23kernel_sync_requirementE0EJNS_3hip11IndexGlobalILNS_9named_dimE0ELi256ELi0EEEEEEJNSS_6LambdaILl0EJNSR_IJNS0_9LambdaArgINS0_18lambda_arg_param_tELl0EEENS16_IS17_Ll1EEEEEEEEENST_ILl1ENSU_10sequential8seq_execEJNS15_ILl1EJNSR_IJNS16_INS0_16lambda_arg_seg_tELl0EEENS16_IS1E_Ll1EEEEEES1A_EEEEEENS15_ILl2EJNSR_IJS1F_EEES1A_EEEEEEEEENS0_9LoopTypesINSR_IJvvEEES1P_EEEEEEvT0_
; %bb.0:
	s_mov_b32 s2, s15
	s_clause 0x1
	s_load_b256 s[4:11], s[0:1], 0x0
	s_load_b128 s[12:15], s[0:1], 0x20
	s_mov_b32 s3, 0
	s_waitcnt lgkmcnt(0)
	s_sub_u32 s16, s6, s4
	s_subb_u32 s17, s7, s5
	s_load_b64 s[6:7], s[0:1], 0xf8
	s_lshl_b64 s[2:3], s[2:3], 8
	s_sub_u32 s10, s10, s8
	v_or_b32_e32 v0, s2, v0
	v_mov_b32_e32 v1, s3
	s_subb_u32 s11, s11, s9
	s_delay_alu instid0(SALU_CYCLE_1) | instskip(NEXT) | instid1(VALU_DEP_2)
	v_cmp_lt_i64_e64 s3, s[10:11], 1
	v_cmp_gt_i64_e64 s2, s[16:17], v[0:1]
	s_delay_alu instid0(VALU_DEP_2) | instskip(NEXT) | instid1(VALU_DEP_1)
	s_and_b32 vcc_lo, exec_lo, s3
	v_cndmask_b32_e64 v3, s13, 0, s2
	v_cndmask_b32_e64 v2, s12, 0, s2
	;; [unrolled: 1-line block ×4, first 2 shown]
	s_cbranch_vccnz .LBB1_5
; %bb.1:
	s_clause 0x4
	s_load_b64 s[12:13], s[0:1], 0xb0
	s_load_b64 s[14:15], s[0:1], 0x58
	;; [unrolled: 1-line block ×5, first 2 shown]
	v_add_co_u32 v10, vcc_lo, s4, v0
	v_add_co_ci_u32_e32 v8, vcc_lo, s5, v1, vcc_lo
	s_waitcnt lgkmcnt(0)
	s_delay_alu instid0(VALU_DEP_2) | instskip(NEXT) | instid1(VALU_DEP_2)
	v_mul_lo_u32 v11, s15, v10
	v_mul_lo_u32 v12, s14, v8
	v_mad_u64_u32 v[6:7], null, s14, v10, 0
	v_mul_lo_u32 v13, s17, v10
	v_mul_lo_u32 v14, s16, v8
	v_mad_u64_u32 v[8:9], null, s16, v10, 0
	s_lshl_b64 s[14:15], s[8:9], 3
	s_delay_alu instid0(VALU_DEP_4) | instskip(SKIP_3) | instid1(VALU_DEP_2)
	v_add3_u32 v7, v7, v12, v11
	s_add_u32 s3, s20, s14
	s_addc_u32 s16, s21, s15
	s_add_u32 s8, s18, s14
	v_add3_u32 v9, v9, v14, v13
	v_lshlrev_b64 v[6:7], 3, v[6:7]
	s_addc_u32 s9, s19, s15
	s_add_u32 s12, s12, s14
	s_addc_u32 s13, s13, s15
	v_lshlrev_b64 v[8:9], 3, v[8:9]
	s_delay_alu instid0(VALU_DEP_2) | instskip(SKIP_1) | instid1(VALU_DEP_3)
	v_add_co_u32 v6, vcc_lo, s3, v6
	v_add_co_ci_u32_e32 v7, vcc_lo, s16, v7, vcc_lo
	v_add_co_u32 v8, vcc_lo, s12, v8
	s_delay_alu instid0(VALU_DEP_4)
	v_add_co_ci_u32_e32 v9, vcc_lo, s13, v9, vcc_lo
	s_mov_b64 s[12:13], 0
	s_set_inst_prefetch_distance 0x1
	s_branch .LBB1_3
	.p2align	6
.LBB1_2:                                ;   in Loop: Header=BB1_3 Depth=1
	s_or_b32 exec_lo, exec_lo, s3
	s_add_u32 s12, s12, 1
	s_addc_u32 s13, s13, 0
	v_add_co_u32 v6, vcc_lo, v6, 8
	v_add_co_ci_u32_e32 v7, vcc_lo, 0, v7, vcc_lo
	v_cmp_lt_i64_e64 s3, s[12:13], s[10:11]
	v_add_co_u32 v8, vcc_lo, v8, 8
	v_add_co_ci_u32_e32 v9, vcc_lo, 0, v9, vcc_lo
	s_add_u32 s8, s8, 8
	s_addc_u32 s9, s9, 0
	s_delay_alu instid0(VALU_DEP_3)
	s_and_b32 vcc_lo, exec_lo, s3
	s_cbranch_vccz .LBB1_5
.LBB1_3:                                ; =>This Inner Loop Header: Depth=1
	s_and_saveexec_b32 s3, s2
	s_cbranch_execz .LBB1_2
; %bb.4:                                ;   in Loop: Header=BB1_3 Depth=1
	global_load_b64 v[10:11], v[6:7], off
	global_load_b64 v[12:13], v[8:9], off
	s_load_b64 s[14:15], s[8:9], 0x0
	s_waitcnt vmcnt(1) lgkmcnt(0)
	v_fma_f64 v[2:3], v[10:11], s[14:15], v[2:3]
	s_waitcnt vmcnt(0)
	v_fma_f64 v[4:5], s[14:15], v[12:13], v[4:5]
	s_branch .LBB1_2
.LBB1_5:
	s_set_inst_prefetch_distance 0x2
	s_load_b128 s[8:11], s[0:1], 0x120
	s_and_saveexec_b32 s0, s2
	s_cbranch_execz .LBB1_7
; %bb.6:
	s_waitcnt lgkmcnt(0)
	v_mul_f64 v[4:5], s[10:11], v[4:5]
	v_lshlrev_b64 v[0:1], 3, v[0:1]
	s_lshl_b64 s[0:1], s[4:5], 3
	s_delay_alu instid0(SALU_CYCLE_1) | instskip(SKIP_1) | instid1(VALU_DEP_1)
	s_add_u32 s0, s0, s6
	s_addc_u32 s1, s1, s7
	v_add_co_u32 v0, vcc_lo, s0, v0
	s_delay_alu instid0(VALU_DEP_2) | instskip(NEXT) | instid1(VALU_DEP_4)
	v_add_co_ci_u32_e32 v1, vcc_lo, s1, v1, vcc_lo
	v_fma_f64 v[2:3], s[8:9], v[2:3], v[4:5]
	global_store_b64 v[0:1], v[2:3], off
.LBB1_7:
	s_nop 0
	s_sendmsg sendmsg(MSG_DEALLOC_VGPRS)
	s_endpgm
	.section	.rodata,"a",@progbits
	.p2align	6, 0x0
	.amdhsa_kernel _ZN4RAJA8internal22HipKernelLauncherFixedILi256ENS0_8LoopDataIN4camp5tupleIJNS_4SpanINS_9Iterators16numeric_iteratorIllPlEElEESA_EEENS4_IJddEEENS3_9resources2v13HipEJZN8rajaperf9polybench17POLYBENCH_GESUMMV17runHipVariantImplILm256EEEvNSG_9VariantIDEEUlRdSL_E_ZNSJ_ILm256EEEvSK_EUlllSL_SL_E_ZNSJ_ILm256EEEvSK_EUllSL_SL_E_EEENS0_24HipStatementListExecutorISP_NS3_4listIJNS_9statement3ForILl0ENS_6policy3hip11hip_indexerINS_17iteration_mapping6DirectELNS_23kernel_sync_requirementE0EJNS_3hip11IndexGlobalILNS_9named_dimE0ELi256ELi0EEEEEEJNSS_6LambdaILl0EJNSR_IJNS0_9LambdaArgINS0_18lambda_arg_param_tELl0EEENS16_IS17_Ll1EEEEEEEEENST_ILl1ENSU_10sequential8seq_execEJNS15_ILl1EJNSR_IJNS16_INS0_16lambda_arg_seg_tELl0EEENS16_IS1E_Ll1EEEEEES1A_EEEEEENS15_ILl2EJNSR_IJS1F_EEES1A_EEEEEEEEENS0_9LoopTypesINSR_IJvvEEES1P_EEEEEEvT0_
		.amdhsa_group_segment_fixed_size 0
		.amdhsa_private_segment_fixed_size 0
		.amdhsa_kernarg_size 328
		.amdhsa_user_sgpr_count 15
		.amdhsa_user_sgpr_dispatch_ptr 0
		.amdhsa_user_sgpr_queue_ptr 0
		.amdhsa_user_sgpr_kernarg_segment_ptr 1
		.amdhsa_user_sgpr_dispatch_id 0
		.amdhsa_user_sgpr_private_segment_size 0
		.amdhsa_wavefront_size32 1
		.amdhsa_uses_dynamic_stack 0
		.amdhsa_enable_private_segment 0
		.amdhsa_system_sgpr_workgroup_id_x 1
		.amdhsa_system_sgpr_workgroup_id_y 0
		.amdhsa_system_sgpr_workgroup_id_z 0
		.amdhsa_system_sgpr_workgroup_info 0
		.amdhsa_system_vgpr_workitem_id 0
		.amdhsa_next_free_vgpr 15
		.amdhsa_next_free_sgpr 22
		.amdhsa_reserve_vcc 1
		.amdhsa_float_round_mode_32 0
		.amdhsa_float_round_mode_16_64 0
		.amdhsa_float_denorm_mode_32 3
		.amdhsa_float_denorm_mode_16_64 3
		.amdhsa_dx10_clamp 1
		.amdhsa_ieee_mode 1
		.amdhsa_fp16_overflow 0
		.amdhsa_workgroup_processor_mode 1
		.amdhsa_memory_ordered 1
		.amdhsa_forward_progress 0
		.amdhsa_shared_vgpr_count 0
		.amdhsa_exception_fp_ieee_invalid_op 0
		.amdhsa_exception_fp_denorm_src 0
		.amdhsa_exception_fp_ieee_div_zero 0
		.amdhsa_exception_fp_ieee_overflow 0
		.amdhsa_exception_fp_ieee_underflow 0
		.amdhsa_exception_fp_ieee_inexact 0
		.amdhsa_exception_int_div_zero 0
	.end_amdhsa_kernel
	.section	.text._ZN4RAJA8internal22HipKernelLauncherFixedILi256ENS0_8LoopDataIN4camp5tupleIJNS_4SpanINS_9Iterators16numeric_iteratorIllPlEElEESA_EEENS4_IJddEEENS3_9resources2v13HipEJZN8rajaperf9polybench17POLYBENCH_GESUMMV17runHipVariantImplILm256EEEvNSG_9VariantIDEEUlRdSL_E_ZNSJ_ILm256EEEvSK_EUlllSL_SL_E_ZNSJ_ILm256EEEvSK_EUllSL_SL_E_EEENS0_24HipStatementListExecutorISP_NS3_4listIJNS_9statement3ForILl0ENS_6policy3hip11hip_indexerINS_17iteration_mapping6DirectELNS_23kernel_sync_requirementE0EJNS_3hip11IndexGlobalILNS_9named_dimE0ELi256ELi0EEEEEEJNSS_6LambdaILl0EJNSR_IJNS0_9LambdaArgINS0_18lambda_arg_param_tELl0EEENS16_IS17_Ll1EEEEEEEEENST_ILl1ENSU_10sequential8seq_execEJNS15_ILl1EJNSR_IJNS16_INS0_16lambda_arg_seg_tELl0EEENS16_IS1E_Ll1EEEEEES1A_EEEEEENS15_ILl2EJNSR_IJS1F_EEES1A_EEEEEEEEENS0_9LoopTypesINSR_IJvvEEES1P_EEEEEEvT0_,"axG",@progbits,_ZN4RAJA8internal22HipKernelLauncherFixedILi256ENS0_8LoopDataIN4camp5tupleIJNS_4SpanINS_9Iterators16numeric_iteratorIllPlEElEESA_EEENS4_IJddEEENS3_9resources2v13HipEJZN8rajaperf9polybench17POLYBENCH_GESUMMV17runHipVariantImplILm256EEEvNSG_9VariantIDEEUlRdSL_E_ZNSJ_ILm256EEEvSK_EUlllSL_SL_E_ZNSJ_ILm256EEEvSK_EUllSL_SL_E_EEENS0_24HipStatementListExecutorISP_NS3_4listIJNS_9statement3ForILl0ENS_6policy3hip11hip_indexerINS_17iteration_mapping6DirectELNS_23kernel_sync_requirementE0EJNS_3hip11IndexGlobalILNS_9named_dimE0ELi256ELi0EEEEEEJNSS_6LambdaILl0EJNSR_IJNS0_9LambdaArgINS0_18lambda_arg_param_tELl0EEENS16_IS17_Ll1EEEEEEEEENST_ILl1ENSU_10sequential8seq_execEJNS15_ILl1EJNSR_IJNS16_INS0_16lambda_arg_seg_tELl0EEENS16_IS1E_Ll1EEEEEES1A_EEEEEENS15_ILl2EJNSR_IJS1F_EEES1A_EEEEEEEEENS0_9LoopTypesINSR_IJvvEEES1P_EEEEEEvT0_,comdat
.Lfunc_end1:
	.size	_ZN4RAJA8internal22HipKernelLauncherFixedILi256ENS0_8LoopDataIN4camp5tupleIJNS_4SpanINS_9Iterators16numeric_iteratorIllPlEElEESA_EEENS4_IJddEEENS3_9resources2v13HipEJZN8rajaperf9polybench17POLYBENCH_GESUMMV17runHipVariantImplILm256EEEvNSG_9VariantIDEEUlRdSL_E_ZNSJ_ILm256EEEvSK_EUlllSL_SL_E_ZNSJ_ILm256EEEvSK_EUllSL_SL_E_EEENS0_24HipStatementListExecutorISP_NS3_4listIJNS_9statement3ForILl0ENS_6policy3hip11hip_indexerINS_17iteration_mapping6DirectELNS_23kernel_sync_requirementE0EJNS_3hip11IndexGlobalILNS_9named_dimE0ELi256ELi0EEEEEEJNSS_6LambdaILl0EJNSR_IJNS0_9LambdaArgINS0_18lambda_arg_param_tELl0EEENS16_IS17_Ll1EEEEEEEEENST_ILl1ENSU_10sequential8seq_execEJNS15_ILl1EJNSR_IJNS16_INS0_16lambda_arg_seg_tELl0EEENS16_IS1E_Ll1EEEEEES1A_EEEEEENS15_ILl2EJNSR_IJS1F_EEES1A_EEEEEEEEENS0_9LoopTypesINSR_IJvvEEES1P_EEEEEEvT0_, .Lfunc_end1-_ZN4RAJA8internal22HipKernelLauncherFixedILi256ENS0_8LoopDataIN4camp5tupleIJNS_4SpanINS_9Iterators16numeric_iteratorIllPlEElEESA_EEENS4_IJddEEENS3_9resources2v13HipEJZN8rajaperf9polybench17POLYBENCH_GESUMMV17runHipVariantImplILm256EEEvNSG_9VariantIDEEUlRdSL_E_ZNSJ_ILm256EEEvSK_EUlllSL_SL_E_ZNSJ_ILm256EEEvSK_EUllSL_SL_E_EEENS0_24HipStatementListExecutorISP_NS3_4listIJNS_9statement3ForILl0ENS_6policy3hip11hip_indexerINS_17iteration_mapping6DirectELNS_23kernel_sync_requirementE0EJNS_3hip11IndexGlobalILNS_9named_dimE0ELi256ELi0EEEEEEJNSS_6LambdaILl0EJNSR_IJNS0_9LambdaArgINS0_18lambda_arg_param_tELl0EEENS16_IS17_Ll1EEEEEEEEENST_ILl1ENSU_10sequential8seq_execEJNS15_ILl1EJNSR_IJNS16_INS0_16lambda_arg_seg_tELl0EEENS16_IS1E_Ll1EEEEEES1A_EEEEEENS15_ILl2EJNSR_IJS1F_EEES1A_EEEEEEEEENS0_9LoopTypesINSR_IJvvEEES1P_EEEEEEvT0_
                                        ; -- End function
	.section	.AMDGPU.csdata,"",@progbits
; Kernel info:
; codeLenInByte = 576
; NumSgprs: 24
; NumVgprs: 15
; ScratchSize: 0
; MemoryBound: 1
; FloatMode: 240
; IeeeMode: 1
; LDSByteSize: 0 bytes/workgroup (compile time only)
; SGPRBlocks: 2
; VGPRBlocks: 1
; NumSGPRsForWavesPerEU: 24
; NumVGPRsForWavesPerEU: 15
; Occupancy: 16
; WaveLimiterHint : 1
; COMPUTE_PGM_RSRC2:SCRATCH_EN: 0
; COMPUTE_PGM_RSRC2:USER_SGPR: 15
; COMPUTE_PGM_RSRC2:TRAP_HANDLER: 0
; COMPUTE_PGM_RSRC2:TGID_X_EN: 1
; COMPUTE_PGM_RSRC2:TGID_Y_EN: 0
; COMPUTE_PGM_RSRC2:TGID_Z_EN: 0
; COMPUTE_PGM_RSRC2:TIDIG_COMP_CNT: 0
	.text
	.p2alignl 7, 3214868480
	.fill 96, 4, 3214868480
	.type	__hip_cuid_ab893b28630e0a0b,@object ; @__hip_cuid_ab893b28630e0a0b
	.section	.bss,"aw",@nobits
	.globl	__hip_cuid_ab893b28630e0a0b
__hip_cuid_ab893b28630e0a0b:
	.byte	0                               ; 0x0
	.size	__hip_cuid_ab893b28630e0a0b, 1

	.ident	"AMD clang version 19.0.0git (https://github.com/RadeonOpenCompute/llvm-project roc-6.4.0 25133 c7fe45cf4b819c5991fe208aaa96edf142730f1d)"
	.section	".note.GNU-stack","",@progbits
	.addrsig
	.addrsig_sym __hip_cuid_ab893b28630e0a0b
	.amdgpu_metadata
---
amdhsa.kernels:
  - .args:
      - .address_space:  global
        .offset:         0
        .size:           8
        .value_kind:     global_buffer
      - .address_space:  global
        .offset:         8
        .size:           8
        .value_kind:     global_buffer
      - .address_space:  global
        .offset:         16
        .size:           8
        .value_kind:     global_buffer
      - .address_space:  global
        .offset:         24
        .size:           8
        .value_kind:     global_buffer
      - .offset:         32
        .size:           8
        .value_kind:     by_value
      - .offset:         40
        .size:           8
        .value_kind:     by_value
      - .offset:         48
        .size:           8
        .value_kind:     by_value
    .group_segment_fixed_size: 0
    .kernarg_segment_align: 8
    .kernarg_segment_size: 56
    .language:       OpenCL C
    .language_version:
      - 2
      - 0
    .max_flat_workgroup_size: 256
    .name:           _ZN8rajaperf9polybench12poly_gesummvILm256EEEvPdS2_S2_S2_ddl
    .private_segment_fixed_size: 0
    .sgpr_count:     18
    .sgpr_spill_count: 0
    .symbol:         _ZN8rajaperf9polybench12poly_gesummvILm256EEEvPdS2_S2_S2_ddl.kd
    .uniform_work_group_size: 1
    .uses_dynamic_stack: false
    .vgpr_count:     14
    .vgpr_spill_count: 0
    .wavefront_size: 32
    .workgroup_processor_mode: 1
  - .args:
      - .offset:         0
        .size:           328
        .value_kind:     by_value
    .group_segment_fixed_size: 0
    .kernarg_segment_align: 8
    .kernarg_segment_size: 328
    .language:       OpenCL C
    .language_version:
      - 2
      - 0
    .max_flat_workgroup_size: 256
    .name:           _ZN4RAJA8internal22HipKernelLauncherFixedILi256ENS0_8LoopDataIN4camp5tupleIJNS_4SpanINS_9Iterators16numeric_iteratorIllPlEElEESA_EEENS4_IJddEEENS3_9resources2v13HipEJZN8rajaperf9polybench17POLYBENCH_GESUMMV17runHipVariantImplILm256EEEvNSG_9VariantIDEEUlRdSL_E_ZNSJ_ILm256EEEvSK_EUlllSL_SL_E_ZNSJ_ILm256EEEvSK_EUllSL_SL_E_EEENS0_24HipStatementListExecutorISP_NS3_4listIJNS_9statement3ForILl0ENS_6policy3hip11hip_indexerINS_17iteration_mapping6DirectELNS_23kernel_sync_requirementE0EJNS_3hip11IndexGlobalILNS_9named_dimE0ELi256ELi0EEEEEEJNSS_6LambdaILl0EJNSR_IJNS0_9LambdaArgINS0_18lambda_arg_param_tELl0EEENS16_IS17_Ll1EEEEEEEEENST_ILl1ENSU_10sequential8seq_execEJNS15_ILl1EJNSR_IJNS16_INS0_16lambda_arg_seg_tELl0EEENS16_IS1E_Ll1EEEEEES1A_EEEEEENS15_ILl2EJNSR_IJS1F_EEES1A_EEEEEEEEENS0_9LoopTypesINSR_IJvvEEES1P_EEEEEEvT0_
    .private_segment_fixed_size: 0
    .sgpr_count:     24
    .sgpr_spill_count: 0
    .symbol:         _ZN4RAJA8internal22HipKernelLauncherFixedILi256ENS0_8LoopDataIN4camp5tupleIJNS_4SpanINS_9Iterators16numeric_iteratorIllPlEElEESA_EEENS4_IJddEEENS3_9resources2v13HipEJZN8rajaperf9polybench17POLYBENCH_GESUMMV17runHipVariantImplILm256EEEvNSG_9VariantIDEEUlRdSL_E_ZNSJ_ILm256EEEvSK_EUlllSL_SL_E_ZNSJ_ILm256EEEvSK_EUllSL_SL_E_EEENS0_24HipStatementListExecutorISP_NS3_4listIJNS_9statement3ForILl0ENS_6policy3hip11hip_indexerINS_17iteration_mapping6DirectELNS_23kernel_sync_requirementE0EJNS_3hip11IndexGlobalILNS_9named_dimE0ELi256ELi0EEEEEEJNSS_6LambdaILl0EJNSR_IJNS0_9LambdaArgINS0_18lambda_arg_param_tELl0EEENS16_IS17_Ll1EEEEEEEEENST_ILl1ENSU_10sequential8seq_execEJNS15_ILl1EJNSR_IJNS16_INS0_16lambda_arg_seg_tELl0EEENS16_IS1E_Ll1EEEEEES1A_EEEEEENS15_ILl2EJNSR_IJS1F_EEES1A_EEEEEEEEENS0_9LoopTypesINSR_IJvvEEES1P_EEEEEEvT0_.kd
    .uniform_work_group_size: 1
    .uses_dynamic_stack: false
    .vgpr_count:     15
    .vgpr_spill_count: 0
    .wavefront_size: 32
    .workgroup_processor_mode: 1
amdhsa.target:   amdgcn-amd-amdhsa--gfx1100
amdhsa.version:
  - 1
  - 2
...

	.end_amdgpu_metadata
